;; amdgpu-corpus repo=ROCm/rocFFT kind=compiled arch=gfx1201 opt=O3
	.text
	.amdgcn_target "amdgcn-amd-amdhsa--gfx1201"
	.amdhsa_code_object_version 6
	.protected	fft_rtc_back_len2592_factors_6_6_6_6_2_wgs_216_tpt_216_halfLds_sp_ip_CI_sbrr_dirReg ; -- Begin function fft_rtc_back_len2592_factors_6_6_6_6_2_wgs_216_tpt_216_halfLds_sp_ip_CI_sbrr_dirReg
	.globl	fft_rtc_back_len2592_factors_6_6_6_6_2_wgs_216_tpt_216_halfLds_sp_ip_CI_sbrr_dirReg
	.p2align	8
	.type	fft_rtc_back_len2592_factors_6_6_6_6_2_wgs_216_tpt_216_halfLds_sp_ip_CI_sbrr_dirReg,@function
fft_rtc_back_len2592_factors_6_6_6_6_2_wgs_216_tpt_216_halfLds_sp_ip_CI_sbrr_dirReg: ; @fft_rtc_back_len2592_factors_6_6_6_6_2_wgs_216_tpt_216_halfLds_sp_ip_CI_sbrr_dirReg
; %bb.0:
	s_clause 0x2
	s_load_b64 s[12:13], s[0:1], 0x18
	s_load_b128 s[4:7], s[0:1], 0x0
	s_load_b64 s[10:11], s[0:1], 0x50
	v_mul_u32_u24_e32 v1, 0x130, v0
	v_mov_b32_e32 v3, 0
	s_delay_alu instid0(VALU_DEP_2) | instskip(NEXT) | instid1(VALU_DEP_1)
	v_lshrrev_b32_e32 v1, 16, v1
	v_add_nc_u32_e32 v5, ttmp9, v1
	v_mov_b32_e32 v1, 0
	v_mov_b32_e32 v2, 0
	;; [unrolled: 1-line block ×3, first 2 shown]
	s_wait_kmcnt 0x0
	s_load_b64 s[8:9], s[12:13], 0x0
	v_cmp_lt_u64_e64 s2, s[6:7], 2
	s_delay_alu instid0(VALU_DEP_1)
	s_and_b32 vcc_lo, exec_lo, s2
	s_cbranch_vccnz .LBB0_8
; %bb.1:
	s_load_b64 s[2:3], s[0:1], 0x10
	v_mov_b32_e32 v1, 0
	v_mov_b32_e32 v2, 0
	s_add_nc_u64 s[14:15], s[12:13], 8
	s_mov_b64 s[16:17], 1
	s_wait_kmcnt 0x0
	s_add_nc_u64 s[18:19], s[2:3], 8
	s_mov_b32 s3, 0
.LBB0_2:                                ; =>This Inner Loop Header: Depth=1
	s_load_b64 s[20:21], s[18:19], 0x0
                                        ; implicit-def: $vgpr7_vgpr8
	s_mov_b32 s2, exec_lo
	s_wait_kmcnt 0x0
	v_or_b32_e32 v4, s21, v6
	s_delay_alu instid0(VALU_DEP_1)
	v_cmpx_ne_u64_e32 0, v[3:4]
	s_wait_alu 0xfffe
	s_xor_b32 s22, exec_lo, s2
	s_cbranch_execz .LBB0_4
; %bb.3:                                ;   in Loop: Header=BB0_2 Depth=1
	s_cvt_f32_u32 s2, s20
	s_cvt_f32_u32 s23, s21
	s_sub_nc_u64 s[26:27], 0, s[20:21]
	s_wait_alu 0xfffe
	s_delay_alu instid0(SALU_CYCLE_1) | instskip(SKIP_1) | instid1(SALU_CYCLE_2)
	s_fmamk_f32 s2, s23, 0x4f800000, s2
	s_wait_alu 0xfffe
	v_s_rcp_f32 s2, s2
	s_delay_alu instid0(TRANS32_DEP_1) | instskip(SKIP_1) | instid1(SALU_CYCLE_2)
	s_mul_f32 s2, s2, 0x5f7ffffc
	s_wait_alu 0xfffe
	s_mul_f32 s23, s2, 0x2f800000
	s_wait_alu 0xfffe
	s_delay_alu instid0(SALU_CYCLE_2) | instskip(SKIP_1) | instid1(SALU_CYCLE_2)
	s_trunc_f32 s23, s23
	s_wait_alu 0xfffe
	s_fmamk_f32 s2, s23, 0xcf800000, s2
	s_cvt_u32_f32 s25, s23
	s_wait_alu 0xfffe
	s_delay_alu instid0(SALU_CYCLE_1) | instskip(SKIP_1) | instid1(SALU_CYCLE_2)
	s_cvt_u32_f32 s24, s2
	s_wait_alu 0xfffe
	s_mul_u64 s[28:29], s[26:27], s[24:25]
	s_wait_alu 0xfffe
	s_mul_hi_u32 s31, s24, s29
	s_mul_i32 s30, s24, s29
	s_mul_hi_u32 s2, s24, s28
	s_mul_i32 s33, s25, s28
	s_wait_alu 0xfffe
	s_add_nc_u64 s[30:31], s[2:3], s[30:31]
	s_mul_hi_u32 s23, s25, s28
	s_mul_hi_u32 s34, s25, s29
	s_add_co_u32 s2, s30, s33
	s_wait_alu 0xfffe
	s_add_co_ci_u32 s2, s31, s23
	s_mul_i32 s28, s25, s29
	s_add_co_ci_u32 s29, s34, 0
	s_wait_alu 0xfffe
	s_add_nc_u64 s[28:29], s[2:3], s[28:29]
	s_wait_alu 0xfffe
	v_add_co_u32 v4, s2, s24, s28
	s_delay_alu instid0(VALU_DEP_1) | instskip(SKIP_1) | instid1(VALU_DEP_1)
	s_cmp_lg_u32 s2, 0
	s_add_co_ci_u32 s25, s25, s29
	v_readfirstlane_b32 s24, v4
	s_wait_alu 0xfffe
	s_delay_alu instid0(VALU_DEP_1)
	s_mul_u64 s[26:27], s[26:27], s[24:25]
	s_wait_alu 0xfffe
	s_mul_hi_u32 s29, s24, s27
	s_mul_i32 s28, s24, s27
	s_mul_hi_u32 s2, s24, s26
	s_mul_i32 s30, s25, s26
	s_wait_alu 0xfffe
	s_add_nc_u64 s[28:29], s[2:3], s[28:29]
	s_mul_hi_u32 s23, s25, s26
	s_mul_hi_u32 s24, s25, s27
	s_wait_alu 0xfffe
	s_add_co_u32 s2, s28, s30
	s_add_co_ci_u32 s2, s29, s23
	s_mul_i32 s26, s25, s27
	s_add_co_ci_u32 s27, s24, 0
	s_wait_alu 0xfffe
	s_add_nc_u64 s[26:27], s[2:3], s[26:27]
	s_wait_alu 0xfffe
	v_add_co_u32 v4, s2, v4, s26
	s_delay_alu instid0(VALU_DEP_1) | instskip(SKIP_1) | instid1(VALU_DEP_1)
	s_cmp_lg_u32 s2, 0
	s_add_co_ci_u32 s2, s25, s27
	v_mul_hi_u32 v13, v5, v4
	s_wait_alu 0xfffe
	v_mad_co_u64_u32 v[7:8], null, v5, s2, 0
	v_mad_co_u64_u32 v[9:10], null, v6, v4, 0
	;; [unrolled: 1-line block ×3, first 2 shown]
	s_delay_alu instid0(VALU_DEP_3) | instskip(SKIP_1) | instid1(VALU_DEP_4)
	v_add_co_u32 v4, vcc_lo, v13, v7
	s_wait_alu 0xfffd
	v_add_co_ci_u32_e32 v7, vcc_lo, 0, v8, vcc_lo
	s_delay_alu instid0(VALU_DEP_2) | instskip(SKIP_1) | instid1(VALU_DEP_2)
	v_add_co_u32 v4, vcc_lo, v4, v9
	s_wait_alu 0xfffd
	v_add_co_ci_u32_e32 v4, vcc_lo, v7, v10, vcc_lo
	s_wait_alu 0xfffd
	v_add_co_ci_u32_e32 v7, vcc_lo, 0, v12, vcc_lo
	s_delay_alu instid0(VALU_DEP_2) | instskip(SKIP_1) | instid1(VALU_DEP_2)
	v_add_co_u32 v4, vcc_lo, v4, v11
	s_wait_alu 0xfffd
	v_add_co_ci_u32_e32 v9, vcc_lo, 0, v7, vcc_lo
	s_delay_alu instid0(VALU_DEP_2) | instskip(SKIP_1) | instid1(VALU_DEP_3)
	v_mul_lo_u32 v10, s21, v4
	v_mad_co_u64_u32 v[7:8], null, s20, v4, 0
	v_mul_lo_u32 v11, s20, v9
	s_delay_alu instid0(VALU_DEP_2) | instskip(NEXT) | instid1(VALU_DEP_2)
	v_sub_co_u32 v7, vcc_lo, v5, v7
	v_add3_u32 v8, v8, v11, v10
	s_delay_alu instid0(VALU_DEP_1) | instskip(SKIP_1) | instid1(VALU_DEP_1)
	v_sub_nc_u32_e32 v10, v6, v8
	s_wait_alu 0xfffd
	v_subrev_co_ci_u32_e64 v10, s2, s21, v10, vcc_lo
	v_add_co_u32 v11, s2, v4, 2
	s_wait_alu 0xf1ff
	v_add_co_ci_u32_e64 v12, s2, 0, v9, s2
	v_sub_co_u32 v13, s2, v7, s20
	v_sub_co_ci_u32_e32 v8, vcc_lo, v6, v8, vcc_lo
	s_wait_alu 0xf1ff
	v_subrev_co_ci_u32_e64 v10, s2, 0, v10, s2
	s_delay_alu instid0(VALU_DEP_3) | instskip(NEXT) | instid1(VALU_DEP_3)
	v_cmp_le_u32_e32 vcc_lo, s20, v13
	v_cmp_eq_u32_e64 s2, s21, v8
	s_wait_alu 0xfffd
	v_cndmask_b32_e64 v13, 0, -1, vcc_lo
	v_cmp_le_u32_e32 vcc_lo, s21, v10
	s_wait_alu 0xfffd
	v_cndmask_b32_e64 v14, 0, -1, vcc_lo
	v_cmp_le_u32_e32 vcc_lo, s20, v7
	;; [unrolled: 3-line block ×3, first 2 shown]
	s_wait_alu 0xfffd
	v_cndmask_b32_e64 v15, 0, -1, vcc_lo
	v_cmp_eq_u32_e32 vcc_lo, s21, v10
	s_wait_alu 0xf1ff
	s_delay_alu instid0(VALU_DEP_2)
	v_cndmask_b32_e64 v7, v15, v7, s2
	s_wait_alu 0xfffd
	v_cndmask_b32_e32 v10, v14, v13, vcc_lo
	v_add_co_u32 v13, vcc_lo, v4, 1
	s_wait_alu 0xfffd
	v_add_co_ci_u32_e32 v14, vcc_lo, 0, v9, vcc_lo
	s_delay_alu instid0(VALU_DEP_3) | instskip(SKIP_2) | instid1(VALU_DEP_3)
	v_cmp_ne_u32_e32 vcc_lo, 0, v10
	s_wait_alu 0xfffd
	v_cndmask_b32_e32 v10, v13, v11, vcc_lo
	v_cndmask_b32_e32 v8, v14, v12, vcc_lo
	v_cmp_ne_u32_e32 vcc_lo, 0, v7
	s_wait_alu 0xfffd
	s_delay_alu instid0(VALU_DEP_2)
	v_dual_cndmask_b32 v7, v4, v10 :: v_dual_cndmask_b32 v8, v9, v8
.LBB0_4:                                ;   in Loop: Header=BB0_2 Depth=1
	s_wait_alu 0xfffe
	s_and_not1_saveexec_b32 s2, s22
	s_cbranch_execz .LBB0_6
; %bb.5:                                ;   in Loop: Header=BB0_2 Depth=1
	v_cvt_f32_u32_e32 v4, s20
	s_sub_co_i32 s22, 0, s20
	s_delay_alu instid0(VALU_DEP_1) | instskip(NEXT) | instid1(TRANS32_DEP_1)
	v_rcp_iflag_f32_e32 v4, v4
	v_mul_f32_e32 v4, 0x4f7ffffe, v4
	s_delay_alu instid0(VALU_DEP_1) | instskip(SKIP_1) | instid1(VALU_DEP_1)
	v_cvt_u32_f32_e32 v4, v4
	s_wait_alu 0xfffe
	v_mul_lo_u32 v7, s22, v4
	s_delay_alu instid0(VALU_DEP_1) | instskip(NEXT) | instid1(VALU_DEP_1)
	v_mul_hi_u32 v7, v4, v7
	v_add_nc_u32_e32 v4, v4, v7
	s_delay_alu instid0(VALU_DEP_1) | instskip(NEXT) | instid1(VALU_DEP_1)
	v_mul_hi_u32 v4, v5, v4
	v_mul_lo_u32 v7, v4, s20
	v_add_nc_u32_e32 v8, 1, v4
	s_delay_alu instid0(VALU_DEP_2) | instskip(NEXT) | instid1(VALU_DEP_1)
	v_sub_nc_u32_e32 v7, v5, v7
	v_subrev_nc_u32_e32 v9, s20, v7
	v_cmp_le_u32_e32 vcc_lo, s20, v7
	s_wait_alu 0xfffd
	s_delay_alu instid0(VALU_DEP_2) | instskip(NEXT) | instid1(VALU_DEP_1)
	v_dual_cndmask_b32 v7, v7, v9 :: v_dual_cndmask_b32 v4, v4, v8
	v_cmp_le_u32_e32 vcc_lo, s20, v7
	s_delay_alu instid0(VALU_DEP_2) | instskip(SKIP_1) | instid1(VALU_DEP_1)
	v_add_nc_u32_e32 v8, 1, v4
	s_wait_alu 0xfffd
	v_dual_cndmask_b32 v7, v4, v8 :: v_dual_mov_b32 v8, v3
.LBB0_6:                                ;   in Loop: Header=BB0_2 Depth=1
	s_wait_alu 0xfffe
	s_or_b32 exec_lo, exec_lo, s2
	s_load_b64 s[22:23], s[14:15], 0x0
	s_delay_alu instid0(VALU_DEP_1)
	v_mul_lo_u32 v4, v8, s20
	v_mul_lo_u32 v11, v7, s21
	v_mad_co_u64_u32 v[9:10], null, v7, s20, 0
	s_add_nc_u64 s[16:17], s[16:17], 1
	s_add_nc_u64 s[14:15], s[14:15], 8
	s_wait_alu 0xfffe
	v_cmp_ge_u64_e64 s2, s[16:17], s[6:7]
	s_add_nc_u64 s[18:19], s[18:19], 8
	s_delay_alu instid0(VALU_DEP_2) | instskip(NEXT) | instid1(VALU_DEP_3)
	v_add3_u32 v4, v10, v11, v4
	v_sub_co_u32 v5, vcc_lo, v5, v9
	s_wait_alu 0xfffd
	s_delay_alu instid0(VALU_DEP_2) | instskip(SKIP_3) | instid1(VALU_DEP_2)
	v_sub_co_ci_u32_e32 v4, vcc_lo, v6, v4, vcc_lo
	s_and_b32 vcc_lo, exec_lo, s2
	s_wait_kmcnt 0x0
	v_mul_lo_u32 v6, s23, v5
	v_mul_lo_u32 v4, s22, v4
	v_mad_co_u64_u32 v[1:2], null, s22, v5, v[1:2]
	s_delay_alu instid0(VALU_DEP_1)
	v_add3_u32 v2, v6, v2, v4
	s_wait_alu 0xfffe
	s_cbranch_vccnz .LBB0_9
; %bb.7:                                ;   in Loop: Header=BB0_2 Depth=1
	v_dual_mov_b32 v5, v7 :: v_dual_mov_b32 v6, v8
	s_branch .LBB0_2
.LBB0_8:
	v_dual_mov_b32 v8, v6 :: v_dual_mov_b32 v7, v5
.LBB0_9:
	s_lshl_b64 s[2:3], s[6:7], 3
	v_mul_hi_u32 v3, 0x12f684c, v0
	s_wait_alu 0xfffe
	s_add_nc_u64 s[2:3], s[12:13], s[2:3]
	s_load_b64 s[0:1], s[0:1], 0x20
	s_load_b64 s[2:3], s[2:3], 0x0
                                        ; implicit-def: $vgpr11
                                        ; implicit-def: $vgpr9
                                        ; implicit-def: $vgpr5
	s_delay_alu instid0(VALU_DEP_1) | instskip(NEXT) | instid1(VALU_DEP_1)
	v_mul_u32_u24_e32 v3, 0xd8, v3
	v_sub_nc_u32_e32 v0, v0, v3
	s_delay_alu instid0(VALU_DEP_1)
	v_add_nc_u32_e32 v39, 0xd8, v0
	v_add_nc_u32_e32 v37, 0x1b0, v0
	;; [unrolled: 1-line block ×4, first 2 shown]
	s_wait_kmcnt 0x0
	v_cmp_gt_u64_e32 vcc_lo, s[0:1], v[7:8]
	v_mul_lo_u32 v3, s2, v8
	v_mul_lo_u32 v4, s3, v7
	v_mad_co_u64_u32 v[1:2], null, s2, v7, v[1:2]
	v_cmp_le_u64_e64 s0, s[0:1], v[7:8]
	v_add_nc_u32_e32 v40, 0x438, v0
                                        ; implicit-def: $vgpr7
	s_delay_alu instid0(VALU_DEP_3) | instskip(NEXT) | instid1(VALU_DEP_3)
	v_add3_u32 v2, v4, v2, v3
                                        ; implicit-def: $vgpr4
	s_and_saveexec_b32 s1, s0
	s_wait_alu 0xfffe
	s_xor_b32 s0, exec_lo, s1
; %bb.10:
	v_add_nc_u32_e32 v4, 0xd8, v0
	v_add_nc_u32_e32 v7, 0x1b0, v0
	v_add_nc_u32_e32 v11, 0x360, v0
	v_add_nc_u32_e32 v9, 0x288, v0
	v_add_nc_u32_e32 v5, 0x438, v0
; %bb.11:
	s_wait_alu 0xfffe
	s_or_saveexec_b32 s1, s0
	v_lshlrev_b64_e32 v[2:3], 3, v[1:2]
	v_add_nc_u32_e32 v43, 0x510, v0
	v_add_nc_u32_e32 v42, 0x6c0, v0
	;; [unrolled: 1-line block ×4, first 2 shown]
                                        ; implicit-def: $vgpr13
                                        ; implicit-def: $vgpr29
                                        ; implicit-def: $vgpr35
                                        ; implicit-def: $vgpr15
                                        ; implicit-def: $vgpr31
                                        ; implicit-def: $vgpr27
                                        ; implicit-def: $vgpr21
                                        ; implicit-def: $vgpr25
                                        ; implicit-def: $vgpr19
                                        ; implicit-def: $vgpr33
                                        ; implicit-def: $vgpr23
                                        ; implicit-def: $vgpr17
	s_wait_alu 0xfffe
	s_xor_b32 exec_lo, exec_lo, s1
	s_cbranch_execz .LBB0_13
; %bb.12:
	v_mad_co_u64_u32 v[4:5], null, s8, v0, 0
	v_mad_co_u64_u32 v[6:7], null, s8, v37, 0
	;; [unrolled: 1-line block ×4, first 2 shown]
	s_delay_alu instid0(VALU_DEP_4) | instskip(NEXT) | instid1(VALU_DEP_4)
	v_dual_mov_b32 v1, v5 :: v_dual_add_nc_u32 v16, 0x870, v0
	v_mov_b32_e32 v5, v7
	v_add_co_u32 v35, s0, s10, v2
	s_delay_alu instid0(VALU_DEP_3) | instskip(SKIP_1) | instid1(VALU_DEP_4)
	v_mad_co_u64_u32 v[12:13], null, s9, v0, v[1:2]
	v_mov_b32_e32 v1, v9
	v_mad_co_u64_u32 v[13:14], null, s9, v37, v[5:6]
	v_mov_b32_e32 v9, v11
	v_mad_co_u64_u32 v[18:19], null, s8, v16, 0
	s_delay_alu instid0(VALU_DEP_4) | instskip(SKIP_1) | instid1(VALU_DEP_4)
	v_mad_co_u64_u32 v[14:15], null, s9, v36, v[1:2]
	v_mov_b32_e32 v5, v12
	v_mad_co_u64_u32 v[11:12], null, s9, v43, v[9:10]
	v_mov_b32_e32 v7, v13
	s_wait_alu 0xf1ff
	v_add_co_ci_u32_e64 v48, s0, s11, v3, s0
	v_mov_b32_e32 v9, v14
	v_mad_co_u64_u32 v[14:15], null, s8, v42, 0
	v_lshlrev_b64_e32 v[4:5], 3, v[4:5]
	v_lshlrev_b64_e32 v[6:7], 3, v[6:7]
	s_delay_alu instid0(VALU_DEP_4)
	v_lshlrev_b64_e32 v[8:9], 3, v[8:9]
	v_mad_co_u64_u32 v[20:21], null, s8, v39, 0
	v_lshlrev_b64_e32 v[10:11], 3, v[10:11]
	v_mov_b32_e32 v1, v15
	v_add_co_u32 v4, s0, v35, v4
	s_wait_alu 0xf1ff
	v_add_co_ci_u32_e64 v5, s0, v48, v5, s0
	s_delay_alu instid0(VALU_DEP_3) | instskip(SKIP_4) | instid1(VALU_DEP_3)
	v_mad_co_u64_u32 v[12:13], null, s9, v42, v[1:2]
	v_mov_b32_e32 v1, v19
	v_add_co_u32 v6, s0, v35, v6
	s_wait_alu 0xf1ff
	v_add_co_ci_u32_e64 v7, s0, v48, v7, s0
	v_mad_co_u64_u32 v[24:25], null, s9, v16, v[1:2]
	v_add_co_u32 v8, s0, v35, v8
	v_mad_co_u64_u32 v[25:26], null, s8, v38, 0
	s_wait_alu 0xf1ff
	v_add_co_ci_u32_e64 v9, s0, v48, v9, s0
	v_mov_b32_e32 v1, v21
	v_add_co_u32 v10, s0, v35, v10
	s_wait_alu 0xf1ff
	v_add_co_ci_u32_e64 v11, s0, v48, v11, s0
	v_mov_b32_e32 v15, v12
	s_clause 0x3
	global_load_b64 v[12:13], v[4:5], off
	global_load_b64 v[16:17], v[6:7], off
	;; [unrolled: 1-line block ×4, first 2 shown]
	v_mad_co_u64_u32 v[6:7], null, s9, v39, v[1:2]
	v_mov_b32_e32 v19, v24
	v_mov_b32_e32 v1, v26
	v_mad_co_u64_u32 v[7:8], null, s8, v40, 0
	v_lshlrev_b64_e32 v[4:5], 3, v[14:15]
	s_delay_alu instid0(VALU_DEP_4) | instskip(NEXT) | instid1(VALU_DEP_4)
	v_lshlrev_b64_e32 v[9:10], 3, v[18:19]
	v_mad_co_u64_u32 v[14:15], null, s9, v38, v[1:2]
	v_mad_co_u64_u32 v[18:19], null, s8, v44, 0
	v_mov_b32_e32 v1, v8
	v_add_nc_u32_e32 v11, 0x948, v0
	v_mad_co_u64_u32 v[30:31], null, s8, v41, 0
	v_mov_b32_e32 v26, v14
	s_delay_alu instid0(VALU_DEP_4)
	v_mad_co_u64_u32 v[14:15], null, s9, v40, v[1:2]
	v_mov_b32_e32 v1, v19
	v_mov_b32_e32 v21, v6
	v_add_co_u32 v4, s0, v35, v4
	s_wait_alu 0xf1ff
	v_add_co_ci_u32_e64 v5, s0, v48, v5, s0
	v_mad_co_u64_u32 v[32:33], null, s9, v44, v[1:2]
	v_mad_co_u64_u32 v[33:34], null, s8, v11, 0
	v_dual_mov_b32 v1, v31 :: v_dual_mov_b32 v8, v14
	v_lshlrev_b64_e32 v[20:21], 3, v[20:21]
	v_add_co_u32 v9, s0, v35, v9
	s_delay_alu instid0(VALU_DEP_3)
	v_mad_co_u64_u32 v[14:15], null, s9, v41, v[1:2]
	v_mov_b32_e32 v1, v34
	v_lshlrev_b64_e32 v[24:25], 3, v[25:26]
	v_mov_b32_e32 v19, v32
	s_wait_alu 0xf1ff
	v_add_co_ci_u32_e64 v10, s0, v48, v10, s0
	v_mad_co_u64_u32 v[26:27], null, s9, v11, v[1:2]
	v_add_co_u32 v20, s0, v35, v20
	v_lshlrev_b64_e32 v[6:7], 3, v[7:8]
	s_wait_alu 0xf1ff
	v_add_co_ci_u32_e64 v21, s0, v48, v21, s0
	v_add_co_u32 v24, s0, v35, v24
	v_lshlrev_b64_e32 v[18:19], 3, v[18:19]
	v_mov_b32_e32 v31, v14
	s_wait_alu 0xf1ff
	v_add_co_ci_u32_e64 v25, s0, v48, v25, s0
	v_add_co_u32 v6, s0, v35, v6
	v_mov_b32_e32 v34, v26
	s_wait_alu 0xf1ff
	v_add_co_ci_u32_e64 v7, s0, v48, v7, s0
	v_lshlrev_b64_e32 v[14:15], 3, v[30:31]
	v_add_co_u32 v26, s0, v35, v18
	s_wait_alu 0xf1ff
	v_add_co_ci_u32_e64 v27, s0, v48, v19, s0
	v_lshlrev_b64_e32 v[18:19], 3, v[33:34]
	s_delay_alu instid0(VALU_DEP_4) | instskip(SKIP_3) | instid1(VALU_DEP_4)
	v_add_co_u32 v45, s0, v35, v14
	s_wait_alu 0xf1ff
	v_add_co_ci_u32_e64 v46, s0, v48, v15, s0
	v_mov_b32_e32 v11, v36
	v_add_co_u32 v47, s0, v35, v18
	s_wait_alu 0xf1ff
	v_add_co_ci_u32_e64 v48, s0, v48, v19, s0
	s_clause 0x7
	global_load_b64 v[34:35], v[4:5], off
	global_load_b64 v[32:33], v[9:10], off
	;; [unrolled: 1-line block ×8, first 2 shown]
	v_dual_mov_b32 v4, v39 :: v_dual_mov_b32 v5, v40
	v_mov_b32_e32 v9, v38
	v_mov_b32_e32 v7, v37
.LBB0_13:
	s_or_b32 exec_lo, exec_lo, s1
	s_wait_loadcnt 0x7
	v_dual_add_f32 v1, v28, v34 :: v_dual_sub_f32 v8, v29, v35
	v_add_f32_e32 v6, v12, v28
	v_sub_f32_e32 v28, v28, v34
	v_add_f32_e32 v10, v29, v35
	s_delay_alu instid0(VALU_DEP_4) | instskip(SKIP_3) | instid1(VALU_DEP_3)
	v_fmac_f32_e32 v12, -0.5, v1
	v_dual_add_f32 v1, v13, v29 :: v_dual_and_b32 v54, 0xffff, v4
	s_wait_loadcnt 0x6
	v_add_f32_e32 v29, v32, v22
	v_dual_fmac_f32 v13, -0.5, v10 :: v_dual_fmamk_f32 v10, v8, 0xbf5db3d7, v12
	s_delay_alu instid0(VALU_DEP_3) | instskip(NEXT) | instid1(VALU_DEP_2)
	v_dual_fmac_f32 v12, 0x3f5db3d7, v8 :: v_dual_add_f32 v1, v1, v35
	v_dual_add_f32 v8, v33, v23 :: v_dual_fmamk_f32 v45, v28, 0x3f5db3d7, v13
	v_dual_fmac_f32 v13, 0xbf5db3d7, v28 :: v_dual_add_f32 v6, v6, v34
	s_delay_alu instid0(VALU_DEP_2) | instskip(SKIP_2) | instid1(VALU_DEP_2)
	v_dual_add_f32 v34, v23, v17 :: v_dual_fmac_f32 v17, -0.5, v8
	v_sub_f32_e32 v8, v22, v32
	v_dual_add_f32 v22, v22, v16 :: v_dual_sub_f32 v23, v23, v33
	v_fmamk_f32 v28, v8, 0x3f5db3d7, v17
	v_dual_fmac_f32 v16, -0.5, v29 :: v_dual_fmac_f32 v17, 0xbf5db3d7, v8
	s_delay_alu instid0(VALU_DEP_3) | instskip(SKIP_1) | instid1(VALU_DEP_3)
	v_add_f32_e32 v8, v32, v22
	v_add_f32_e32 v33, v33, v34
	v_dual_mul_f32 v35, 0xbf5db3d7, v28 :: v_dual_fmamk_f32 v22, v23, 0xbf5db3d7, v16
	v_fmac_f32_e32 v16, 0x3f5db3d7, v23
	s_delay_alu instid0(VALU_DEP_2) | instskip(NEXT) | instid1(VALU_DEP_1)
	v_dual_mul_f32 v48, -0.5, v17 :: v_dual_fmac_f32 v35, 0.5, v22
	v_add_f32_e32 v23, v10, v35
	v_dual_mul_f32 v47, 0x3f5db3d7, v22 :: v_dual_sub_f32 v34, v10, v35
	s_wait_loadcnt 0x3
	s_delay_alu instid0(VALU_DEP_1)
	v_dual_add_f32 v10, v15, v31 :: v_dual_fmac_f32 v47, 0.5, v28
	v_dual_mul_f32 v46, 0xbf5db3d7, v17 :: v_dual_sub_f32 v17, v6, v8
	v_add_f32_e32 v22, v6, v8
	s_wait_loadcnt 0x1
	v_add_f32_e32 v8, v31, v27
	v_add_f32_e32 v28, v1, v33
	v_dual_fmac_f32 v46, -0.5, v16 :: v_dual_sub_f32 v33, v1, v33
	v_add_f32_e32 v1, v30, v26
	v_add_f32_e32 v6, v14, v30
	s_delay_alu instid0(VALU_DEP_3) | instskip(SKIP_1) | instid1(VALU_DEP_4)
	v_dual_add_f32 v10, v10, v27 :: v_dual_sub_f32 v35, v12, v46
	v_fmac_f32_e32 v48, 0x3f5db3d7, v16
	v_dual_fmac_f32 v14, -0.5, v1 :: v_dual_sub_f32 v1, v31, v27
	v_dual_add_f32 v27, v25, v19 :: v_dual_add_f32 v16, v12, v46
	v_add_f32_e32 v29, v45, v47
	s_delay_alu instid0(VALU_DEP_3)
	v_fmamk_f32 v31, v1, 0xbf5db3d7, v14
	v_fmac_f32_e32 v14, 0x3f5db3d7, v1
	s_wait_loadcnt 0x0
	v_add_f32_e32 v1, v21, v25
	v_sub_f32_e32 v12, v45, v47
	v_dual_add_f32 v6, v6, v26 :: v_dual_sub_f32 v25, v25, v21
	s_delay_alu instid0(VALU_DEP_3)
	v_fmac_f32_e32 v19, -0.5, v1
	v_sub_f32_e32 v1, v24, v20
	v_dual_fmac_f32 v15, -0.5, v8 :: v_dual_sub_f32 v8, v30, v26
	v_add_f32_e32 v32, v13, v48
	v_add_f32_e32 v26, v20, v24
	v_dual_add_f32 v24, v24, v18 :: v_dual_sub_f32 v13, v13, v48
	s_delay_alu instid0(VALU_DEP_4) | instskip(SKIP_4) | instid1(VALU_DEP_3)
	v_fmamk_f32 v47, v8, 0x3f5db3d7, v15
	v_fmac_f32_e32 v15, 0xbf5db3d7, v8
	v_fmamk_f32 v8, v1, 0x3f5db3d7, v19
	v_fmac_f32_e32 v19, 0xbf5db3d7, v1
	v_add_f32_e32 v1, v20, v24
	v_dual_mul_f32 v45, 0xbf5db3d7, v8 :: v_dual_fmac_f32 v18, -0.5, v26
	s_delay_alu instid0(VALU_DEP_3) | instskip(SKIP_1) | instid1(VALU_DEP_3)
	v_mul_f32_e32 v46, 0xbf5db3d7, v19
	v_mul_f32_e32 v50, -0.5, v19
	v_fmamk_f32 v20, v25, 0xbf5db3d7, v18
	s_delay_alu instid0(VALU_DEP_1) | instskip(NEXT) | instid1(VALU_DEP_1)
	v_mul_f32_e32 v49, 0x3f5db3d7, v20
	v_fmac_f32_e32 v49, 0.5, v8
	v_dual_fmac_f32 v45, 0.5, v20 :: v_dual_add_f32 v48, v21, v27
	v_mul_u32_u24_e32 v8, 6, v0
	s_delay_alu instid0(VALU_DEP_3) | instskip(NEXT) | instid1(VALU_DEP_3)
	v_add_f32_e32 v27, v47, v49
	v_add_f32_e32 v21, v31, v45
	v_sub_f32_e32 v45, v31, v45
	v_dual_fmac_f32 v18, 0x3f5db3d7, v25 :: v_dual_sub_f32 v31, v10, v48
	v_sub_f32_e32 v25, v6, v1
	v_add_f32_e32 v26, v10, v48
	s_delay_alu instid0(VALU_DEP_3)
	v_fmac_f32_e32 v46, -0.5, v18
	v_fmac_f32_e32 v50, 0x3f5db3d7, v18
	v_add_f32_e32 v20, v6, v1
	v_mul_i32_i24_e32 v1, 6, v4
	v_lshl_add_u32 v18, v8, 2, 0
	v_add_f32_e32 v24, v14, v46
	v_sub_f32_e32 v46, v14, v46
	v_add_f32_e32 v30, v15, v50
	v_lshl_add_u32 v19, v1, 2, 0
	v_sub_f32_e32 v15, v15, v50
	ds_store_2addr_b64 v18, v[22:23], v[16:17] offset1:1
	ds_store_b64 v18, v[34:35] offset:16
	ds_store_2addr_b64 v19, v[20:21], v[24:25] offset1:1
	ds_store_b64 v19, v[45:46] offset:16
	v_and_b32_e32 v35, 0xff, v0
	v_mul_u32_u24_e32 v24, 0xaaab, v54
	v_mad_i32_i24 v20, 0xffffffec, v0, v18
	v_lshl_add_u32 v22, v11, 2, 0
	v_lshl_add_u32 v21, v7, 2, 0
	v_mul_lo_u16 v23, 0xab, v35
	v_lshrrev_b32_e32 v55, 18, v24
	v_add_nc_u32_e32 v6, 0x1080, v20
	v_add_nc_u32_e32 v8, 0x1780, v20
	;; [unrolled: 1-line block ×3, first 2 shown]
	v_lshrrev_b16 v53, 10, v23
	v_mad_i32_i24 v1, 0xffffffec, v4, v19
	v_sub_f32_e32 v14, v47, v49
	global_wb scope:SCOPE_SE
	s_wait_dscnt 0x0
	s_barrier_signal -1
	v_mul_lo_u16 v23, v53, 6
	s_barrier_wait -1
	global_inv scope:SCOPE_SE
	ds_load_2addr_b32 v[16:17], v6 offset0:24 offset1:240
	ds_load_2addr_b32 v[45:46], v8 offset0:8 offset1:224
	v_sub_nc_u16 v23, v0, v23
	ds_load_2addr_b32 v[47:48], v10 offset0:24 offset1:240
	ds_load_b32 v59, v22
	ds_load_b32 v60, v1
	;; [unrolled: 1-line block ×3, first 2 shown]
	ds_load_b32 v62, v20 offset:2592
	ds_load_b32 v63, v21
	ds_load_b32 v64, v20 offset:9504
	global_wb scope:SCOPE_SE
	s_wait_dscnt 0x0
	s_barrier_signal -1
	v_and_b32_e32 v65, 0xff, v23
	v_mul_lo_u16 v23, v55, 6
	s_barrier_wait -1
	global_inv scope:SCOPE_SE
	ds_store_2addr_b64 v18, v[28:29], v[32:33] offset1:1
	ds_store_b64 v18, v[12:13] offset:16
	v_mul_u32_u24_e32 v12, 5, v65
	v_sub_nc_u16 v13, v4, v23
	v_lshlrev_b32_e32 v65, 2, v65
	ds_store_2addr_b64 v19, v[26:27], v[30:31] offset1:1
	ds_store_b64 v19, v[14:15] offset:16
	global_wb scope:SCOPE_SE
	s_wait_dscnt 0x0
	v_lshlrev_b32_e32 v18, 3, v12
	v_and_b32_e32 v66, 0xffff, v13
	s_barrier_signal -1
	s_barrier_wait -1
	global_inv scope:SCOPE_SE
	s_clause 0x1
	global_load_b128 v[12:15], v18, s[4:5]
	global_load_b128 v[23:26], v18, s[4:5] offset:16
	v_mul_u32_u24_e32 v27, 5, v66
	v_and_b32_e32 v53, 0xffff, v53
	v_mul_u32_u24_e32 v67, 0x90, v55
	s_delay_alu instid0(VALU_DEP_3)
	v_lshlrev_b32_e32 v51, 3, v27
	s_clause 0x3
	global_load_b64 v[49:50], v18, s[4:5] offset:32
	global_load_b128 v[27:30], v51, s[4:5]
	global_load_b128 v[31:34], v51, s[4:5] offset:16
	global_load_b64 v[51:52], v51, s[4:5] offset:32
	v_mul_lo_u16 v18, v35, 57
	v_mul_u32_u24_e32 v35, 0xe38f, v54
	v_mul_u32_u24_e32 v68, 0x90, v53
	s_delay_alu instid0(VALU_DEP_3) | instskip(NEXT) | instid1(VALU_DEP_3)
	v_lshrrev_b16 v18, 11, v18
	v_lshrrev_b32_e32 v35, 21, v35
	s_delay_alu instid0(VALU_DEP_3) | instskip(NEXT) | instid1(VALU_DEP_3)
	v_add3_u32 v65, 0, v68, v65
	v_mul_lo_u16 v54, v18, 36
	s_delay_alu instid0(VALU_DEP_3) | instskip(SKIP_1) | instid1(VALU_DEP_3)
	v_mul_lo_u16 v56, v35, 36
	v_mul_u32_u24_e32 v35, 0x360, v35
	v_sub_nc_u16 v54, v0, v54
	s_delay_alu instid0(VALU_DEP_3) | instskip(NEXT) | instid1(VALU_DEP_2)
	v_sub_nc_u16 v56, v4, v56
	v_and_b32_e32 v69, 0xff, v54
	s_delay_alu instid0(VALU_DEP_2)
	v_and_b32_e32 v70, 0xffff, v56
	ds_load_b32 v71, v21
	ds_load_2addr_b32 v[53:54], v6 offset0:24 offset1:240
	ds_load_b32 v72, v22
	ds_load_2addr_b32 v[55:56], v8 offset0:8 offset1:224
	ds_load_2addr_b32 v[57:58], v10 offset0:24 offset1:240
	ds_load_b32 v73, v1
	ds_load_b32 v74, v20
	ds_load_b32 v75, v20 offset:2592
	ds_load_b32 v77, v20 offset:9504
	global_wb scope:SCOPE_SE
	s_wait_loadcnt_dscnt 0x0
	v_mul_u32_u24_e32 v76, 5, v69
	s_barrier_signal -1
	s_barrier_wait -1
	global_inv scope:SCOPE_SE
	v_mul_f32_e32 v79, v54, v24
	s_delay_alu instid0(VALU_DEP_1)
	v_fmac_f32_e32 v79, v17, v23
	v_mul_f32_e32 v81, v58, v50
	v_mul_f32_e32 v83, v53, v30
	v_lshlrev_b32_e32 v66, 2, v66
	v_mul_f32_e32 v85, v57, v34
	v_mul_f32_e32 v30, v16, v30
	v_fmac_f32_e32 v81, v48, v49
	v_fmac_f32_e32 v83, v16, v29
	v_add3_u32 v66, 0, v67, v66
	v_dual_mul_f32 v76, v72, v15 :: v_dual_lshlrev_b32 v67, 3, v76
	v_fmac_f32_e32 v85, v47, v33
	v_dual_mul_f32 v15, v59, v15 :: v_dual_mul_f32 v24, v17, v24
	v_mul_f32_e32 v50, v48, v50
	s_delay_alu instid0(VALU_DEP_4)
	v_fmac_f32_e32 v76, v59, v14
	v_mul_f32_e32 v68, v71, v13
	v_mul_f32_e32 v13, v63, v13
	v_fma_f32 v16, v53, v29, -v30
	v_add_f32_e32 v48, v83, v85
	v_mul_u32_u24_e32 v78, 5, v70
	v_fmac_f32_e32 v68, v63, v12
	v_fma_f32 v12, v71, v12, -v13
	v_fma_f32 v13, v72, v14, -v15
	v_mul_f32_e32 v80, v56, v26
	v_mul_f32_e32 v26, v46, v26
	s_delay_alu instid0(VALU_DEP_1) | instskip(NEXT) | instid1(VALU_DEP_1)
	v_fma_f32 v15, v56, v25, -v26
	v_dual_sub_f32 v29, v13, v15 :: v_dual_fmac_f32 v80, v46, v25
	v_dual_mul_f32 v34, v47, v34 :: v_dual_add_f32 v47, v60, v83
	v_fmac_f32_e32 v60, -0.5, v48
	v_add_f32_e32 v30, v74, v13
	v_mul_f32_e32 v86, v77, v52
	v_mul_f32_e32 v52, v64, v52
	v_fma_f32 v25, v57, v33, -v34
	v_add_f32_e32 v33, v79, v81
	v_fma_f32 v14, v54, v23, -v24
	v_mul_f32_e32 v82, v75, v28
	v_mul_f32_e32 v28, v62, v28
	;; [unrolled: 1-line block ×3, first 2 shown]
	v_fma_f32 v26, v77, v51, -v52
	v_add_f32_e32 v13, v13, v15
	v_add_f32_e32 v15, v30, v15
	v_fma_f32 v23, v75, v27, -v28
	v_dual_fmac_f32 v86, v64, v51 :: v_dual_sub_f32 v51, v83, v85
	v_fma_f32 v17, v58, v49, -v50
	v_dual_add_f32 v50, v73, v16 :: v_dual_sub_f32 v49, v16, v25
	v_fmac_f32_e32 v84, v45, v31
	v_add_f32_e32 v16, v16, v25
	s_delay_alu instid0(VALU_DEP_3) | instskip(NEXT) | instid1(VALU_DEP_3)
	v_dual_add_f32 v25, v50, v25 :: v_dual_mul_f32 v32, v45, v32
	v_add_f32_e32 v53, v84, v86
	v_add_f32_e32 v45, v12, v14
	s_delay_alu instid0(VALU_DEP_4) | instskip(NEXT) | instid1(VALU_DEP_4)
	v_dual_fmac_f32 v73, -0.5, v16 :: v_dual_fmac_f32 v82, v62, v27
	v_fma_f32 v24, v55, v31, -v32
	v_add_f32_e32 v27, v61, v76
	v_add_f32_e32 v28, v76, v80
	v_sub_f32_e32 v34, v14, v17
	v_add_f32_e32 v32, v68, v79
	s_delay_alu instid0(VALU_DEP_4) | instskip(NEXT) | instid1(VALU_DEP_4)
	v_dual_add_f32 v14, v14, v17 :: v_dual_add_f32 v27, v27, v80
	v_fmac_f32_e32 v61, -0.5, v28
	v_dual_sub_f32 v31, v76, v80 :: v_dual_fmac_f32 v74, -0.5, v13
	s_delay_alu instid0(VALU_DEP_4)
	v_dual_add_f32 v13, v32, v81 :: v_dual_add_f32 v52, v82, v84
	v_dual_add_f32 v17, v45, v17 :: v_dual_sub_f32 v54, v24, v26
	v_dual_fmac_f32 v82, -0.5, v53 :: v_dual_add_f32 v55, v23, v24
	v_fmac_f32_e32 v68, -0.5, v33
	v_fmamk_f32 v28, v31, 0x3f5db3d7, v74
	v_dual_fmac_f32 v74, 0xbf5db3d7, v31 :: v_dual_add_f32 v31, v27, v13
	v_add_f32_e32 v32, v15, v17
	v_sub_f32_e32 v13, v27, v13
	v_sub_f32_e32 v15, v15, v17
	v_dual_sub_f32 v46, v79, v81 :: v_dual_fmamk_f32 v33, v54, 0xbf5db3d7, v82
	v_fmamk_f32 v27, v51, 0x3f5db3d7, v73
	v_dual_fmac_f32 v73, 0xbf5db3d7, v51 :: v_dual_fmac_f32 v12, -0.5, v14
	v_fmac_f32_e32 v82, 0x3f5db3d7, v54
	v_add_f32_e32 v14, v47, v85
	v_add_f32_e32 v24, v24, v26
	s_delay_alu instid0(VALU_DEP_1)
	v_dual_fmamk_f32 v30, v46, 0x3f5db3d7, v12 :: v_dual_fmac_f32 v23, -0.5, v24
	v_sub_f32_e32 v56, v84, v86
	v_fmamk_f32 v24, v29, 0xbf5db3d7, v61
	v_fmac_f32_e32 v61, 0x3f5db3d7, v29
	v_fmamk_f32 v29, v34, 0xbf5db3d7, v68
	v_fmac_f32_e32 v68, 0x3f5db3d7, v34
	v_fmamk_f32 v34, v56, 0x3f5db3d7, v23
	v_dual_fmac_f32 v23, 0xbf5db3d7, v56 :: v_dual_add_f32 v16, v52, v86
	s_delay_alu instid0(VALU_DEP_1) | instskip(SKIP_1) | instid1(VALU_DEP_2)
	v_mul_f32_e32 v47, 0xbf5db3d7, v23
	v_mul_f32_e32 v23, -0.5, v23
	v_fmac_f32_e32 v47, -0.5, v82
	s_delay_alu instid0(VALU_DEP_4)
	v_add_f32_e32 v45, v14, v16
	v_sub_f32_e32 v14, v14, v16
	v_mul_f32_e32 v16, 0xbf5db3d7, v30
	v_mul_f32_e32 v30, 0.5, v30
	v_fmac_f32_e32 v23, 0x3f5db3d7, v82
	v_dual_add_f32 v26, v55, v26 :: v_dual_fmamk_f32 v17, v49, 0xbf5db3d7, v60
	s_delay_alu instid0(VALU_DEP_4) | instskip(NEXT) | instid1(VALU_DEP_4)
	v_fmac_f32_e32 v16, 0.5, v29
	v_fmac_f32_e32 v30, 0x3f5db3d7, v29
	s_delay_alu instid0(VALU_DEP_4) | instskip(NEXT) | instid1(VALU_DEP_4)
	v_dual_fmac_f32 v60, 0x3f5db3d7, v49 :: v_dual_add_f32 v53, v73, v23
	v_add_f32_e32 v49, v25, v26
	s_delay_alu instid0(VALU_DEP_4) | instskip(SKIP_3) | instid1(VALU_DEP_4)
	v_dual_add_f32 v29, v24, v16 :: v_dual_fmac_f32 v12, 0xbf5db3d7, v46
	v_sub_f32_e32 v25, v25, v26
	v_mul_f32_e32 v46, 0xbf5db3d7, v34
	v_dual_mul_f32 v34, 0.5, v34 :: v_dual_sub_f32 v23, v73, v23
	v_mul_f32_e32 v26, 0xbf5db3d7, v12
	v_add_f32_e32 v50, v28, v30
	s_delay_alu instid0(VALU_DEP_4) | instskip(NEXT) | instid1(VALU_DEP_4)
	v_fmac_f32_e32 v46, 0.5, v33
	v_fmac_f32_e32 v34, 0x3f5db3d7, v33
	s_delay_alu instid0(VALU_DEP_4) | instskip(NEXT) | instid1(VALU_DEP_2)
	v_fmac_f32_e32 v26, -0.5, v68
	v_add_f32_e32 v52, v27, v34
	v_sub_f32_e32 v27, v27, v34
	s_delay_alu instid0(VALU_DEP_3)
	v_dual_add_f32 v33, v61, v26 :: v_dual_sub_f32 v16, v24, v16
	v_sub_f32_e32 v24, v61, v26
	v_sub_f32_e32 v26, v28, v30
	v_add_f32_e32 v28, v17, v46
	v_dual_add_f32 v30, v60, v47 :: v_dual_sub_f32 v17, v17, v46
	v_sub_f32_e32 v46, v60, v47
	ds_store_2addr_b32 v65, v31, v29 offset1:6
	ds_store_2addr_b32 v65, v33, v13 offset0:12 offset1:18
	ds_store_2addr_b32 v65, v16, v24 offset0:24 offset1:30
	ds_store_2addr_b32 v66, v45, v28 offset1:6
	ds_store_2addr_b32 v66, v30, v14 offset0:12 offset1:18
	ds_store_2addr_b32 v66, v17, v46 offset0:24 offset1:30
	global_wb scope:SCOPE_SE
	s_wait_dscnt 0x0
	s_barrier_signal -1
	s_barrier_wait -1
	global_inv scope:SCOPE_SE
	ds_load_2addr_b32 v[16:17], v6 offset0:24 offset1:240
	ds_load_2addr_b32 v[45:46], v8 offset0:8 offset1:224
	;; [unrolled: 1-line block ×3, first 2 shown]
	ds_load_b32 v59, v22
	ds_load_b32 v60, v1
	ds_load_b32 v61, v20
	ds_load_b32 v62, v20 offset:2592
	ds_load_b32 v63, v21
	ds_load_b32 v64, v20 offset:9504
	v_mul_f32_e32 v12, -0.5, v12
	global_wb scope:SCOPE_SE
	s_wait_dscnt 0x0
	s_barrier_signal -1
	s_barrier_wait -1
	global_inv scope:SCOPE_SE
	v_fmac_f32_e32 v12, 0x3f5db3d7, v68
	s_delay_alu instid0(VALU_DEP_1)
	v_add_f32_e32 v51, v74, v12
	v_sub_f32_e32 v12, v74, v12
	ds_store_2addr_b32 v65, v32, v50 offset1:6
	ds_store_2addr_b32 v65, v51, v15 offset0:12 offset1:18
	ds_store_2addr_b32 v65, v26, v12 offset0:24 offset1:30
	ds_store_2addr_b32 v66, v49, v52 offset1:6
	ds_store_2addr_b32 v66, v53, v25 offset0:12 offset1:18
	ds_store_2addr_b32 v66, v27, v23 offset0:24 offset1:30
	global_wb scope:SCOPE_SE
	s_wait_dscnt 0x0
	s_barrier_signal -1
	s_barrier_wait -1
	global_inv scope:SCOPE_SE
	s_clause 0x1
	global_load_b128 v[12:15], v67, s[4:5] offset:240
	global_load_b128 v[23:26], v67, s[4:5] offset:256
	v_lshlrev_b32_e32 v51, 3, v78
	s_clause 0x3
	global_load_b64 v[49:50], v67, s[4:5] offset:272
	global_load_b128 v[27:30], v51, s[4:5] offset:240
	global_load_b128 v[31:34], v51, s[4:5] offset:256
	global_load_b64 v[51:52], v51, s[4:5] offset:272
	ds_load_b32 v66, v21
	ds_load_b32 v67, v22
	ds_load_2addr_b32 v[53:54], v6 offset0:24 offset1:240
	ds_load_2addr_b32 v[55:56], v8 offset0:8 offset1:224
	v_mul_u32_u24_e32 v65, 5, v0
	s_delay_alu instid0(VALU_DEP_1)
	v_lshlrev_b32_e32 v65, 3, v65
	s_wait_loadcnt_dscnt 0x503
	v_mul_f32_e32 v72, v66, v13
	v_mul_f32_e32 v13, v63, v13
	s_wait_dscnt 0x2
	v_mul_f32_e32 v73, v67, v15
	s_wait_loadcnt_dscnt 0x401
	v_dual_mul_f32 v15, v59, v15 :: v_dual_mul_f32 v74, v54, v24
	v_mul_f32_e32 v24, v17, v24
	v_fmac_f32_e32 v72, v63, v12
	v_fma_f32 v12, v66, v12, -v13
	v_fmac_f32_e32 v73, v59, v14
	v_fma_f32 v13, v67, v14, -v15
	v_fma_f32 v14, v54, v23, -v24
	v_lshlrev_b32_e32 v68, 2, v69
	v_lshlrev_b32_e32 v69, 2, v70
	ds_load_2addr_b32 v[57:58], v10 offset0:24 offset1:240
	ds_load_b32 v70, v20
	ds_load_b32 v71, v20 offset:2592
	s_wait_dscnt 0x3
	v_dual_mul_f32 v75, v56, v26 :: v_dual_fmac_f32 v74, v17, v23
	s_wait_loadcnt 0x1
	v_mul_f32_e32 v79, v55, v32
	s_delay_alu instid0(VALU_DEP_2) | instskip(NEXT) | instid1(VALU_DEP_2)
	v_dual_mul_f32 v32, v45, v32 :: v_dual_fmac_f32 v75, v46, v25
	v_fmac_f32_e32 v79, v45, v31
	s_delay_alu instid0(VALU_DEP_2)
	v_fma_f32 v24, v55, v31, -v32
	v_add_f32_e32 v32, v72, v74
	v_add_f32_e32 v45, v12, v14
	v_sub_f32_e32 v31, v73, v75
	s_wait_dscnt 0x2
	v_mul_f32_e32 v80, v57, v34
	v_mul_f32_e32 v34, v47, v34
	s_wait_dscnt 0x0
	v_mul_f32_e32 v77, v71, v28
	v_mul_f32_e32 v28, v62, v28
	s_delay_alu instid0(VALU_DEP_2) | instskip(NEXT) | instid1(VALU_DEP_2)
	v_dual_fmac_f32 v80, v47, v33 :: v_dual_fmac_f32 v77, v62, v27
	v_fma_f32 v23, v71, v27, -v28
	v_dual_mul_f32 v26, v46, v26 :: v_dual_add_f32 v27, v61, v73
	s_delay_alu instid0(VALU_DEP_2) | instskip(NEXT) | instid1(VALU_DEP_2)
	v_dual_add_f32 v28, v73, v75 :: v_dual_add_f32 v55, v23, v24
	v_fma_f32 v15, v56, v25, -v26
	s_delay_alu instid0(VALU_DEP_3) | instskip(NEXT) | instid1(VALU_DEP_3)
	v_dual_add_f32 v27, v27, v75 :: v_dual_mul_f32 v78, v53, v30
	v_dual_mul_f32 v30, v16, v30 :: v_dual_fmac_f32 v61, -0.5, v28
	v_fma_f32 v25, v57, v33, -v34
	s_delay_alu instid0(VALU_DEP_3) | instskip(NEXT) | instid1(VALU_DEP_3)
	v_fmac_f32_e32 v78, v16, v29
	v_fma_f32 v16, v53, v29, -v30
	v_dual_sub_f32 v29, v13, v15 :: v_dual_mul_f32 v76, v58, v50
	v_dual_add_f32 v30, v70, v13 :: v_dual_add_f32 v13, v13, v15
	s_delay_alu instid0(VALU_DEP_4) | instskip(NEXT) | instid1(VALU_DEP_3)
	v_add_f32_e32 v47, v60, v78
	v_fmac_f32_e32 v76, v48, v49
	v_and_b32_e32 v18, 0xffff, v18
	s_delay_alu instid0(VALU_DEP_4) | instskip(NEXT) | instid1(VALU_DEP_3)
	v_dual_fmac_f32 v70, -0.5, v13 :: v_dual_add_f32 v15, v30, v15
	v_add_f32_e32 v13, v32, v76
	s_delay_alu instid0(VALU_DEP_3) | instskip(NEXT) | instid1(VALU_DEP_3)
	v_mul_u32_u24_e32 v18, 0x360, v18
	v_dual_add_f32 v33, v74, v76 :: v_dual_fmamk_f32 v28, v31, 0x3f5db3d7, v70
	s_delay_alu instid0(VALU_DEP_3) | instskip(NEXT) | instid1(VALU_DEP_3)
	v_dual_fmac_f32 v70, 0xbf5db3d7, v31 :: v_dual_add_f32 v31, v27, v13
	v_add3_u32 v18, 0, v18, v68
	v_add3_u32 v68, 0, v35, v69
	ds_load_b32 v35, v1
	ds_load_b32 v69, v20 offset:9504
	v_fmac_f32_e32 v72, -0.5, v33
	v_dual_mul_f32 v50, v48, v50 :: v_dual_sub_f32 v13, v27, v13
	global_wb scope:SCOPE_SE
	s_wait_loadcnt_dscnt 0x0
	s_barrier_signal -1
	s_barrier_wait -1
	v_fma_f32 v17, v58, v49, -v50
	v_sub_f32_e32 v49, v16, v25
	global_inv scope:SCOPE_SE
	v_mul_f32_e32 v81, v69, v52
	v_mul_f32_e32 v52, v64, v52
	s_delay_alu instid0(VALU_DEP_2) | instskip(NEXT) | instid1(VALU_DEP_2)
	v_fmac_f32_e32 v81, v64, v51
	v_fma_f32 v26, v69, v51, -v52
	s_delay_alu instid0(VALU_DEP_2) | instskip(NEXT) | instid1(VALU_DEP_2)
	v_dual_add_f32 v52, v77, v79 :: v_dual_add_f32 v53, v79, v81
	v_sub_f32_e32 v54, v24, v26
	v_add_f32_e32 v24, v24, v26
	v_sub_f32_e32 v56, v79, v81
	s_delay_alu instid0(VALU_DEP_4) | instskip(NEXT) | instid1(VALU_DEP_3)
	v_dual_add_f32 v26, v55, v26 :: v_dual_fmac_f32 v77, -0.5, v53
	v_fmac_f32_e32 v23, -0.5, v24
	v_fmamk_f32 v24, v29, 0xbf5db3d7, v61
	v_sub_f32_e32 v34, v14, v17
	v_fmac_f32_e32 v61, 0x3f5db3d7, v29
	v_add_f32_e32 v14, v14, v17
	v_fmamk_f32 v33, v54, 0xbf5db3d7, v77
	v_add_f32_e32 v17, v45, v17
	v_fmamk_f32 v29, v34, 0xbf5db3d7, v72
	v_fmac_f32_e32 v72, 0x3f5db3d7, v34
	v_fmamk_f32 v34, v56, 0x3f5db3d7, v23
	v_fmac_f32_e32 v12, -0.5, v14
	v_add_f32_e32 v14, v47, v80
	v_fmac_f32_e32 v23, 0xbf5db3d7, v56
	v_fmac_f32_e32 v77, 0x3f5db3d7, v54
	v_mul_f32_e32 v47, 0xbf5db3d7, v34
	v_mul_f32_e32 v34, 0.5, v34
	v_add_f32_e32 v32, v15, v17
	v_sub_f32_e32 v15, v15, v17
	s_delay_alu instid0(VALU_DEP_4) | instskip(SKIP_2) | instid1(VALU_DEP_3)
	v_dual_fmac_f32 v47, 0.5, v33 :: v_dual_add_f32 v50, v35, v16
	v_add_f32_e32 v16, v16, v25
	v_fmac_f32_e32 v34, 0x3f5db3d7, v33
	v_add_f32_e32 v25, v50, v25
	s_delay_alu instid0(VALU_DEP_3) | instskip(NEXT) | instid1(VALU_DEP_1)
	v_dual_fmac_f32 v35, -0.5, v16 :: v_dual_add_f32 v16, v52, v81
	v_add_f32_e32 v45, v14, v16
	v_sub_f32_e32 v46, v74, v76
	v_sub_f32_e32 v14, v14, v16
	s_delay_alu instid0(VALU_DEP_2) | instskip(SKIP_3) | instid1(VALU_DEP_4)
	v_fmamk_f32 v30, v46, 0x3f5db3d7, v12
	v_fmac_f32_e32 v12, 0xbf5db3d7, v46
	v_add_f32_e32 v46, v25, v26
	v_sub_f32_e32 v25, v25, v26
	v_dual_sub_f32 v51, v78, v80 :: v_dual_mul_f32 v16, 0xbf5db3d7, v30
	v_mul_f32_e32 v30, 0.5, v30
	v_mul_f32_e32 v26, 0xbf5db3d7, v12
	s_delay_alu instid0(VALU_DEP_3) | instskip(SKIP_2) | instid1(VALU_DEP_3)
	v_dual_mul_f32 v12, -0.5, v12 :: v_dual_fmamk_f32 v27, v51, 0x3f5db3d7, v35
	v_dual_add_f32 v48, v78, v80 :: v_dual_fmac_f32 v35, 0xbf5db3d7, v51
	v_fmac_f32_e32 v16, 0.5, v29
	v_dual_fmac_f32 v30, 0x3f5db3d7, v29 :: v_dual_add_f32 v51, v27, v34
	s_delay_alu instid0(VALU_DEP_3) | instskip(SKIP_3) | instid1(VALU_DEP_4)
	v_fmac_f32_e32 v60, -0.5, v48
	v_mul_f32_e32 v48, 0xbf5db3d7, v23
	v_dual_mul_f32 v23, -0.5, v23 :: v_dual_fmac_f32 v26, -0.5, v72
	v_fmac_f32_e32 v12, 0x3f5db3d7, v72
	v_fmamk_f32 v17, v49, 0xbf5db3d7, v60
	v_fmac_f32_e32 v60, 0x3f5db3d7, v49
	v_fmac_f32_e32 v48, -0.5, v77
	v_fmac_f32_e32 v23, 0x3f5db3d7, v77
	v_add_f32_e32 v29, v24, v16
	v_add_f32_e32 v49, v28, v30
	v_dual_add_f32 v33, v61, v26 :: v_dual_add_f32 v50, v70, v12
	v_sub_f32_e32 v16, v24, v16
	v_sub_f32_e32 v24, v61, v26
	;; [unrolled: 1-line block ×4, first 2 shown]
	v_add_f32_e32 v28, v17, v47
	v_add_f32_e32 v30, v60, v48
	;; [unrolled: 1-line block ×3, first 2 shown]
	v_sub_f32_e32 v17, v17, v47
	v_sub_f32_e32 v23, v35, v23
	v_dual_sub_f32 v47, v60, v48 :: v_dual_sub_f32 v48, v27, v34
	ds_store_2addr_b32 v18, v31, v29 offset1:36
	ds_store_2addr_b32 v18, v33, v13 offset0:72 offset1:108
	ds_store_2addr_b32 v18, v16, v24 offset0:144 offset1:180
	ds_store_2addr_b32 v68, v45, v28 offset1:36
	ds_store_2addr_b32 v68, v30, v14 offset0:72 offset1:108
	ds_store_2addr_b32 v68, v17, v47 offset0:144 offset1:180
	global_wb scope:SCOPE_SE
	s_wait_dscnt 0x0
	s_barrier_signal -1
	s_barrier_wait -1
	global_inv scope:SCOPE_SE
	ds_load_2addr_b32 v[16:17], v6 offset0:24 offset1:240
	ds_load_2addr_b32 v[27:28], v8 offset0:8 offset1:224
	;; [unrolled: 1-line block ×3, first 2 shown]
	ds_load_b32 v53, v22
	ds_load_b32 v54, v1
	ds_load_b32 v55, v20
	ds_load_b32 v56, v20 offset:2592
	ds_load_b32 v57, v21
	ds_load_b32 v58, v20 offset:9504
	global_wb scope:SCOPE_SE
	s_wait_dscnt 0x0
	s_barrier_signal -1
	s_barrier_wait -1
	global_inv scope:SCOPE_SE
	ds_store_2addr_b32 v18, v32, v49 offset1:36
	ds_store_2addr_b32 v18, v50, v15 offset0:72 offset1:108
	ds_store_2addr_b32 v18, v26, v12 offset0:144 offset1:180
	ds_store_2addr_b32 v68, v46, v51 offset1:36
	ds_store_2addr_b32 v68, v52, v25 offset0:72 offset1:108
	ds_store_2addr_b32 v68, v48, v23 offset0:144 offset1:180
	global_wb scope:SCOPE_SE
	s_wait_dscnt 0x0
	s_barrier_signal -1
	s_barrier_wait -1
	global_inv scope:SCOPE_SE
	s_clause 0x2
	global_load_b128 v[12:15], v65, s[4:5] offset:1680
	global_load_b128 v[23:26], v65, s[4:5] offset:1696
	global_load_b64 v[45:46], v65, s[4:5] offset:1712
	ds_load_b32 v18, v21
	ds_load_b32 v59, v22
	ds_load_2addr_b32 v[47:48], v6 offset0:24 offset1:240
	ds_load_2addr_b32 v[49:50], v8 offset0:8 offset1:224
	;; [unrolled: 1-line block ×3, first 2 shown]
	ds_load_b32 v10, v20
	ds_load_b32 v60, v20 offset:2592
	ds_load_b32 v61, v1
	ds_load_b32 v62, v20 offset:9504
	v_add_nc_u32_e32 v31, 0x1400, v20
	v_lshl_add_u32 v29, v9, 2, 0
	v_lshl_add_u32 v30, v5, 2, 0
	v_add_nc_u32_e32 v33, 0x2180, v20
	global_wb scope:SCOPE_SE
	s_wait_loadcnt_dscnt 0x0
	s_barrier_signal -1
	s_barrier_wait -1
	global_inv scope:SCOPE_SE
	v_mul_f32_e32 v65, v59, v15
	v_dual_mul_f32 v69, v50, v26 :: v_dual_mul_f32 v74, v47, v15
	v_dual_mul_f32 v76, v51, v26 :: v_dual_mul_f32 v67, v48, v24
	v_mul_f32_e32 v71, v52, v46
	v_mul_f32_e32 v73, v60, v13
	;; [unrolled: 1-line block ×4, first 2 shown]
	v_fmac_f32_e32 v65, v53, v14
	v_fmac_f32_e32 v69, v28, v25
	v_fmac_f32_e32 v74, v16, v14
	v_fmac_f32_e32 v76, v34, v25
	v_dual_mul_f32 v63, v18, v13 :: v_dual_mul_f32 v70, v28, v26
	v_dual_mul_f32 v26, v34, v26 :: v_dual_fmac_f32 v67, v17, v23
	v_fmac_f32_e32 v71, v35, v45
	v_fmac_f32_e32 v73, v56, v12
	;; [unrolled: 1-line block ×4, first 2 shown]
	v_sub_f32_e32 v34, v65, v69
	v_mul_f32_e32 v64, v57, v13
	v_dual_mul_f32 v13, v56, v13 :: v_dual_sub_f32 v56, v74, v76
	v_mul_f32_e32 v72, v35, v46
	v_mul_f32_e32 v46, v58, v46
	;; [unrolled: 1-line block ×4, first 2 shown]
	v_dual_fmac_f32 v63, v57, v12 :: v_dual_add_f32 v58, v75, v77
	s_delay_alu instid0(VALU_DEP_4) | instskip(SKIP_2) | instid1(VALU_DEP_4)
	v_fma_f32 v16, v62, v45, -v46
	v_add_f32_e32 v46, v67, v71
	v_fma_f32 v35, v52, v45, -v72
	v_add_f32_e32 v45, v63, v67
	v_add_f32_e32 v57, v73, v75
	v_fmac_f32_e32 v73, -0.5, v58
	v_dual_fmac_f32 v63, -0.5, v46 :: v_dual_mul_f32 v68, v17, v24
	v_mul_f32_e32 v24, v27, v24
	v_fma_f32 v18, v18, v12, -v64
	v_fma_f32 v53, v59, v14, -v66
	;; [unrolled: 1-line block ×6, first 2 shown]
	v_add_f32_e32 v24, v65, v69
	v_fma_f32 v17, v48, v23, -v68
	v_fma_f32 v15, v51, v25, -v26
	v_add_f32_e32 v23, v55, v65
	v_sub_f32_e32 v25, v53, v28
	v_dual_sub_f32 v59, v14, v16 :: v_dual_add_f32 v60, v12, v14
	v_add_f32_e32 v14, v14, v16
	v_dual_fmac_f32 v55, -0.5, v24 :: v_dual_add_f32 v26, v10, v53
	v_add_f32_e32 v27, v53, v28
	s_delay_alu instid0(VALU_DEP_3) | instskip(NEXT) | instid1(VALU_DEP_3)
	v_dual_sub_f32 v47, v17, v35 :: v_dual_fmac_f32 v12, -0.5, v14
	v_fmamk_f32 v14, v25, 0xbf5db3d7, v55
	v_fmac_f32_e32 v55, 0x3f5db3d7, v25
	v_dual_add_f32 v48, v18, v17 :: v_dual_add_f32 v17, v17, v35
	v_sub_f32_e32 v49, v67, v71
	v_add_f32_e32 v53, v61, v13
	v_sub_f32_e32 v62, v75, v77
	v_add_f32_e32 v24, v26, v28
	v_fmac_f32_e32 v10, -0.5, v27
	v_dual_add_f32 v27, v48, v35 :: v_dual_fmac_f32 v18, -0.5, v17
	v_add_f32_e32 v50, v54, v74
	v_sub_f32_e32 v52, v13, v15
	v_add_f32_e32 v13, v13, v15
	v_add_f32_e32 v35, v53, v15
	v_fmamk_f32 v15, v34, 0x3f5db3d7, v10
	v_fmac_f32_e32 v10, 0xbf5db3d7, v34
	v_fmamk_f32 v25, v49, 0x3f5db3d7, v18
	v_fmac_f32_e32 v18, 0xbf5db3d7, v49
	v_add_f32_e32 v34, v24, v27
	v_dual_sub_f32 v46, v24, v27 :: v_dual_fmamk_f32 v27, v62, 0x3f5db3d7, v12
	v_dual_add_f32 v26, v45, v71 :: v_dual_add_f32 v45, v60, v16
	v_fmamk_f32 v16, v47, 0xbf5db3d7, v63
	v_fmac_f32_e32 v63, 0x3f5db3d7, v47
	s_delay_alu instid0(VALU_DEP_4) | instskip(SKIP_4) | instid1(VALU_DEP_4)
	v_mul_f32_e32 v53, 0.5, v27
	v_add_f32_e32 v51, v74, v76
	v_dual_add_f32 v17, v50, v76 :: v_dual_mul_f32 v50, 0xbf5db3d7, v18
	v_dual_mul_f32 v18, -0.5, v18 :: v_dual_fmac_f32 v61, -0.5, v13
	v_add_f32_e32 v13, v57, v77
	v_dual_add_f32 v23, v23, v69 :: v_dual_fmac_f32 v54, -0.5, v51
	v_fmac_f32_e32 v12, 0xbf5db3d7, v62
	s_delay_alu instid0(VALU_DEP_4)
	v_fmac_f32_e32 v18, 0x3f5db3d7, v63
	v_add_nc_u32_e32 v32, 0x1b00, v20
	v_add_f32_e32 v48, v17, v13
	v_sub_f32_e32 v13, v17, v13
	v_mul_f32_e32 v17, 0xbf5db3d7, v25
	v_add_nc_u32_e32 v6, 0x680, v20
	v_add_f32_e32 v28, v23, v26
	v_sub_f32_e32 v23, v23, v26
	v_dual_fmamk_f32 v26, v59, 0xbf5db3d7, v73 :: v_dual_mul_f32 v25, 0.5, v25
	v_mul_f32_e32 v51, 0xbf5db3d7, v27
	v_fmac_f32_e32 v73, 0x3f5db3d7, v59
	v_dual_add_f32 v57, v10, v18 :: v_dual_fmamk_f32 v24, v52, 0xbf5db3d7, v54
	v_fmac_f32_e32 v54, 0x3f5db3d7, v52
	v_mul_f32_e32 v52, 0xbf5db3d7, v12
	v_dual_fmac_f32 v17, 0.5, v16 :: v_dual_fmac_f32 v50, -0.5, v63
	v_fmac_f32_e32 v25, 0x3f5db3d7, v16
	s_delay_alu instid0(VALU_DEP_3) | instskip(NEXT) | instid1(VALU_DEP_3)
	v_dual_fmac_f32 v51, 0.5, v26 :: v_dual_fmac_f32 v52, -0.5, v73
	v_dual_add_f32 v16, v14, v17 :: v_dual_fmac_f32 v53, 0x3f5db3d7, v26
	s_delay_alu instid0(VALU_DEP_4)
	v_add_f32_e32 v26, v55, v50
	v_dual_add_f32 v49, v35, v45 :: v_dual_add_nc_u32 v8, 0xd00, v20
	v_dual_sub_f32 v14, v14, v17 :: v_dual_sub_f32 v17, v55, v50
	v_fmamk_f32 v47, v56, 0x3f5db3d7, v61
	v_dual_fmac_f32 v61, 0xbf5db3d7, v56 :: v_dual_add_f32 v56, v15, v25
	v_dual_sub_f32 v50, v15, v25 :: v_dual_add_f32 v15, v24, v51
	v_sub_f32_e32 v10, v10, v18
	v_add_f32_e32 v18, v54, v52
	v_dual_sub_f32 v24, v24, v51 :: v_dual_sub_f32 v25, v54, v52
	ds_store_2addr_b32 v20, v28, v16 offset1:216
	ds_store_2addr_b32 v6, v26, v23 offset0:16 offset1:232
	ds_store_2addr_b32 v8, v14, v17 offset0:32 offset1:248
	;; [unrolled: 1-line block ×3, first 2 shown]
	ds_store_2addr_b32 v32, v18, v13 offset1:216
	ds_store_2addr_b32 v33, v24, v25 offset0:16 offset1:232
	global_wb scope:SCOPE_SE
	s_wait_dscnt 0x0
	s_barrier_signal -1
	s_barrier_wait -1
	global_inv scope:SCOPE_SE
	ds_load_2addr_b32 v[13:14], v31 offset0:16 offset1:232
	ds_load_b32 v24, v20
	ds_load_b32 v23, v21
	ds_load_2addr_b32 v[15:16], v32 offset1:216
	ds_load_b32 v25, v1
	ds_load_b32 v28, v30
	;; [unrolled: 1-line block ×4, first 2 shown]
	ds_load_2addr_b32 v[17:18], v33 offset0:16 offset1:232
	v_dual_mul_f32 v12, -0.5, v12 :: v_dual_add_f32 v1, v47, v53
	v_sub_f32_e32 v35, v35, v45
	v_sub_f32_e32 v45, v47, v53
	global_wb scope:SCOPE_SE
	s_wait_dscnt 0x0
	v_fmac_f32_e32 v12, 0x3f5db3d7, v73
	s_barrier_signal -1
	s_barrier_wait -1
	global_inv scope:SCOPE_SE
	v_add_f32_e32 v48, v61, v12
	v_sub_f32_e32 v12, v61, v12
	ds_store_2addr_b32 v20, v34, v56 offset1:216
	ds_store_2addr_b32 v6, v57, v46 offset0:16 offset1:232
	ds_store_2addr_b32 v8, v50, v10 offset0:32 offset1:248
	;; [unrolled: 1-line block ×3, first 2 shown]
	ds_store_2addr_b32 v32, v48, v35 offset1:216
	ds_store_2addr_b32 v33, v45, v12 offset0:16 offset1:232
	global_wb scope:SCOPE_SE
	s_wait_dscnt 0x0
	s_barrier_signal -1
	s_barrier_wait -1
	global_inv scope:SCOPE_SE
	s_and_saveexec_b32 s0, vcc_lo
	s_cbranch_execz .LBB0_15
; %bb.14:
	v_mul_i32_i24_e32 v59, 0xffffffec, v4
	v_mov_b32_e32 v6, 0
	v_mad_co_u64_u32 v[49:50], null, s8, v44, 0
	v_mad_co_u64_u32 v[51:52], null, s8, v37, 0
	s_delay_alu instid0(VALU_DEP_3) | instskip(SKIP_3) | instid1(VALU_DEP_4)
	v_dual_mov_b32 v12, v6 :: v_dual_add_nc_u32 v59, v19, v59
	v_lshlrev_b64_e32 v[34:35], 3, v[5:6]
	v_dual_mov_b32 v5, v6 :: v_dual_mov_b32 v10, v6
	v_mov_b32_e32 v1, v6
	v_lshlrev_b64_e32 v[11:12], 3, v[11:12]
	v_mov_b32_e32 v8, v6
	v_add_co_u32 v34, vcc_lo, s4, v34
	v_lshlrev_b64_e32 v[9:10], 3, v[9:10]
	s_wait_alu 0xfffd
	v_add_co_ci_u32_e32 v35, vcc_lo, s5, v35, vcc_lo
	v_add_co_u32 v11, vcc_lo, s4, v11
	v_lshlrev_b64_e32 v[7:8], 3, v[7:8]
	s_wait_alu 0xfffd
	v_add_co_ci_u32_e32 v12, vcc_lo, s5, v12, vcc_lo
	v_add_co_u32 v9, vcc_lo, s4, v9
	s_wait_alu 0xfffd
	v_add_co_ci_u32_e32 v10, vcc_lo, s5, v10, vcc_lo
	v_lshlrev_b64_e32 v[45:46], 3, v[4:5]
	v_add_co_u32 v5, vcc_lo, s4, v7
	s_wait_alu 0xfffd
	v_add_co_ci_u32_e32 v6, vcc_lo, s5, v8, vcc_lo
	v_lshlrev_b64_e32 v[7:8], 3, v[0:1]
	s_delay_alu instid0(VALU_DEP_4)
	v_add_co_u32 v45, vcc_lo, s4, v45
	s_wait_alu 0xfffd
	v_add_co_ci_u32_e32 v46, vcc_lo, s5, v46, vcc_lo
	s_clause 0x2
	global_load_b64 v[34:35], v[34:35], off offset:10320
	global_load_b64 v[11:12], v[11:12], off offset:10320
	;; [unrolled: 1-line block ×3, first 2 shown]
	v_add_co_u32 v7, vcc_lo, s4, v7
	s_wait_alu 0xfffd
	v_add_co_ci_u32_e32 v8, vcc_lo, s5, v8, vcc_lo
	s_clause 0x2
	global_load_b64 v[5:6], v[5:6], off offset:10320
	global_load_b64 v[45:46], v[45:46], off offset:10320
	;; [unrolled: 1-line block ×3, first 2 shown]
	ds_load_2addr_b32 v[47:48], v33 offset0:16 offset1:232
	ds_load_b32 v64, v30
	ds_load_b32 v65, v29
	ds_load_2addr_b32 v[29:30], v32 offset1:216
	ds_load_2addr_b32 v[31:32], v31 offset0:16 offset1:232
	ds_load_b32 v66, v22
	ds_load_b32 v67, v21
	;; [unrolled: 1-line block ×3, first 2 shown]
	v_mad_co_u64_u32 v[20:21], null, s8, v0, 0
	v_add_co_u32 v69, vcc_lo, s10, v2
	v_mad_co_u64_u32 v[53:54], null, s8, v42, 0
	v_mad_co_u64_u32 v[55:56], null, s8, v38, 0
	s_delay_alu instid0(VALU_DEP_4)
	v_mov_b32_e32 v19, v21
	v_mul_hi_u32 v61, 0xca4587e7, v40
	v_mad_co_u64_u32 v[57:58], null, s8, v41, 0
	v_mul_hi_u32 v60, 0xca4587e7, v36
	s_wait_alu 0xfffd
	v_add_co_ci_u32_e32 v70, vcc_lo, s11, v3, vcc_lo
	v_mad_co_u64_u32 v[1:2], null, s8, v43, 0
	v_mad_co_u64_u32 v[3:4], null, s8, v39, 0
	v_dual_mov_b32 v21, v50 :: v_dual_mov_b32 v22, v52
	v_dual_mov_b32 v33, v54 :: v_dual_mov_b32 v50, v56
	v_lshrrev_b32_e32 v56, 10, v61
	v_mov_b32_e32 v52, v58
	v_lshrrev_b32_e32 v54, 10, v60
	ds_load_b32 v71, v59
	v_mad_co_u64_u32 v[58:59], null, s9, v0, v[19:20]
	v_mad_co_u64_u32 v[59:60], null, s9, v43, v[2:3]
	v_mad_u32_u24 v72, 0x510, v56, v40
	v_mad_co_u64_u32 v[43:44], null, s9, v44, v[21:22]
	s_delay_alu instid0(VALU_DEP_2) | instskip(NEXT) | instid1(VALU_DEP_1)
	v_dual_mov_b32 v21, v58 :: v_dual_add_nc_u32 v74, 0x510, v72
	v_lshlrev_b64_e32 v[19:20], 3, v[20:21]
	s_delay_alu instid0(VALU_DEP_1) | instskip(SKIP_1) | instid1(VALU_DEP_2)
	v_add_co_u32 v19, vcc_lo, v69, v19
	s_wait_alu 0xfffd
	v_add_co_ci_u32_e32 v20, vcc_lo, v70, v20, vcc_lo
	s_wait_loadcnt 0x2
	v_mad_co_u64_u32 v[60:61], null, s9, v39, v[4:5]
	v_mad_co_u64_u32 v[61:62], null, s9, v37, v[22:23]
	;; [unrolled: 1-line block ×3, first 2 shown]
	v_mad_u32_u24 v63, 0x510, v54, v36
	v_mad_co_u64_u32 v[37:38], null, s9, v38, v[50:51]
	v_mov_b32_e32 v50, v43
	v_mad_co_u64_u32 v[43:44], null, s8, v74, 0
	s_delay_alu instid0(VALU_DEP_4)
	v_add_nc_u32_e32 v73, 0x510, v63
	v_mad_co_u64_u32 v[38:39], null, s9, v41, v[52:53]
	v_mad_co_u64_u32 v[39:40], null, s8, v63, 0
	v_mad_co_u64_u32 v[41:42], null, s8, v72, 0
	v_mov_b32_e32 v2, v59
	v_mov_b32_e32 v4, v60
	v_mov_b32_e32 v56, v37
	v_mad_co_u64_u32 v[36:37], null, s8, v73, 0
	v_mov_b32_e32 v52, v61
	v_mov_b32_e32 v54, v62
	v_dual_mov_b32 v58, v38 :: v_dual_mov_b32 v33, v42
	v_lshlrev_b64_e32 v[0:1], 3, v[1:2]
	v_lshlrev_b64_e32 v[2:3], 3, v[3:4]
	v_mov_b32_e32 v4, v40
	v_lshlrev_b64_e32 v[21:22], 3, v[49:50]
	v_lshlrev_b64_e32 v[49:50], 3, v[51:52]
	;; [unrolled: 1-line block ×5, first 2 shown]
	v_mad_co_u64_u32 v[57:58], null, s9, v63, v[4:5]
	v_mov_b32_e32 v4, v37
	v_mad_co_u64_u32 v[37:38], null, s9, v72, v[33:34]
	v_mov_b32_e32 v33, v44
	v_add_co_u32 v0, vcc_lo, v69, v0
	s_delay_alu instid0(VALU_DEP_4) | instskip(NEXT) | instid1(VALU_DEP_3)
	v_mad_co_u64_u32 v[58:59], null, s9, v73, v[4:5]
	v_mad_co_u64_u32 v[59:60], null, s9, v74, v[33:34]
	s_wait_dscnt 0x8
	v_mul_f32_e32 v33, v48, v35
	s_wait_alu 0xfffd
	v_add_co_ci_u32_e32 v1, vcc_lo, v70, v1, vcc_lo
	v_dual_mul_f32 v4, v18, v35 :: v_dual_mul_f32 v35, v16, v10
	s_delay_alu instid0(VALU_DEP_3)
	v_dual_fmac_f32 v33, v18, v34 :: v_dual_mul_f32 v18, v17, v12
	v_mul_f32_e32 v12, v47, v12
	v_add_co_u32 v2, vcc_lo, v69, v2
	s_wait_alu 0xfffd
	v_add_co_ci_u32_e32 v3, vcc_lo, v70, v3, vcc_lo
	v_add_co_u32 v21, vcc_lo, v69, v21
	v_mov_b32_e32 v40, v57
	v_dual_mov_b32 v42, v37 :: v_dual_mov_b32 v37, v58
	s_wait_loadcnt_dscnt 0x5
	v_dual_mul_f32 v10, v30, v10 :: v_dual_mul_f32 v57, v13, v8
	s_wait_dscnt 0x4
	v_mul_f32_e32 v58, v31, v8
	v_fma_f32 v8, v47, v11, -v18
	v_fmac_f32_e32 v12, v17, v11
	v_fma_f32 v11, v30, v9, -v35
	v_mov_b32_e32 v44, v59
	s_wait_alu 0xfffd
	v_add_co_ci_u32_e32 v22, vcc_lo, v70, v22, vcc_lo
	v_add_co_u32 v49, vcc_lo, v69, v49
	s_wait_alu 0xfffd
	v_add_co_ci_u32_e32 v50, vcc_lo, v70, v50, vcc_lo
	v_add_co_u32 v51, vcc_lo, v69, v51
	v_lshlrev_b64_e32 v[38:39], 3, v[39:40]
	v_lshlrev_b64_e32 v[40:41], 3, v[41:42]
	v_fma_f32 v4, v48, v34, -v4
	v_mul_f32_e32 v48, v29, v6
	v_dual_fmac_f32 v10, v16, v9 :: v_dual_sub_f32 v9, v65, v11
	v_lshlrev_b64_e32 v[42:43], 3, v[43:44]
	v_mul_f32_e32 v44, v15, v6
	v_mul_f32_e32 v6, v14, v46
	;; [unrolled: 1-line block ×3, first 2 shown]
	s_wait_alu 0xfffd
	v_add_co_ci_u32_e32 v52, vcc_lo, v70, v52, vcc_lo
	v_add_co_u32 v53, vcc_lo, v69, v53
	s_wait_alu 0xfffd
	v_add_co_ci_u32_e32 v54, vcc_lo, v70, v54, vcc_lo
	v_fmac_f32_e32 v48, v15, v5
	v_fma_f32 v15, v32, v45, -v6
	v_fmac_f32_e32 v46, v14, v45
	v_fma_f32 v14, v31, v7, -v57
	v_fmac_f32_e32 v58, v13, v7
	v_add_co_u32 v55, vcc_lo, v69, v55
	s_wait_alu 0xfffd
	v_add_co_ci_u32_e32 v56, vcc_lo, v70, v56, vcc_lo
	v_lshlrev_b64_e32 v[36:37], 3, v[36:37]
	v_add_co_u32 v38, vcc_lo, v69, v38
	v_fma_f32 v16, v29, v5, -v44
	v_sub_f32_e32 v33, v28, v33
	s_wait_dscnt 0x0
	v_sub_f32_e32 v13, v71, v15
	v_sub_f32_e32 v15, v68, v14
	;; [unrolled: 1-line block ×3, first 2 shown]
	s_wait_alu 0xfffd
	v_add_co_ci_u32_e32 v39, vcc_lo, v70, v39, vcc_lo
	v_add_co_u32 v40, vcc_lo, v69, v40
	v_sub_f32_e32 v6, v27, v12
	v_sub_f32_e32 v12, v25, v46
	s_wait_alu 0xfffd
	v_add_co_ci_u32_e32 v41, vcc_lo, v70, v41, vcc_lo
	v_sub_f32_e32 v7, v66, v8
	v_dual_sub_f32 v8, v26, v10 :: v_dual_sub_f32 v11, v67, v16
	v_sub_f32_e32 v10, v23, v48
	v_add_co_u32 v36, vcc_lo, v69, v36
	v_sub_f32_e32 v34, v64, v4
	v_fma_f32 v4, v28, 2.0, -v33
	v_fma_f32 v29, v68, 2.0, -v15
	;; [unrolled: 1-line block ×3, first 2 shown]
	s_wait_alu 0xfffd
	v_add_co_ci_u32_e32 v37, vcc_lo, v70, v37, vcc_lo
	v_fma_f32 v31, v71, 2.0, -v13
	v_fma_f32 v30, v25, 2.0, -v12
	v_add_co_u32 v42, vcc_lo, v69, v42
	v_fma_f32 v24, v67, 2.0, -v11
	v_fma_f32 v23, v23, 2.0, -v10
	s_wait_alu 0xfffd
	v_add_co_ci_u32_e32 v43, vcc_lo, v70, v43, vcc_lo
	v_fma_f32 v5, v64, 2.0, -v34
	v_fma_f32 v17, v66, 2.0, -v7
	;; [unrolled: 1-line block ×5, first 2 shown]
	s_clause 0xb
	global_store_b64 v[19:20], v[28:29], off
	global_store_b64 v[0:1], v[14:15], off
	;; [unrolled: 1-line block ×12, first 2 shown]
.LBB0_15:
	s_nop 0
	s_sendmsg sendmsg(MSG_DEALLOC_VGPRS)
	s_endpgm
	.section	.rodata,"a",@progbits
	.p2align	6, 0x0
	.amdhsa_kernel fft_rtc_back_len2592_factors_6_6_6_6_2_wgs_216_tpt_216_halfLds_sp_ip_CI_sbrr_dirReg
		.amdhsa_group_segment_fixed_size 0
		.amdhsa_private_segment_fixed_size 0
		.amdhsa_kernarg_size 88
		.amdhsa_user_sgpr_count 2
		.amdhsa_user_sgpr_dispatch_ptr 0
		.amdhsa_user_sgpr_queue_ptr 0
		.amdhsa_user_sgpr_kernarg_segment_ptr 1
		.amdhsa_user_sgpr_dispatch_id 0
		.amdhsa_user_sgpr_private_segment_size 0
		.amdhsa_wavefront_size32 1
		.amdhsa_uses_dynamic_stack 0
		.amdhsa_enable_private_segment 0
		.amdhsa_system_sgpr_workgroup_id_x 1
		.amdhsa_system_sgpr_workgroup_id_y 0
		.amdhsa_system_sgpr_workgroup_id_z 0
		.amdhsa_system_sgpr_workgroup_info 0
		.amdhsa_system_vgpr_workitem_id 0
		.amdhsa_next_free_vgpr 87
		.amdhsa_next_free_sgpr 35
		.amdhsa_reserve_vcc 1
		.amdhsa_float_round_mode_32 0
		.amdhsa_float_round_mode_16_64 0
		.amdhsa_float_denorm_mode_32 3
		.amdhsa_float_denorm_mode_16_64 3
		.amdhsa_fp16_overflow 0
		.amdhsa_workgroup_processor_mode 1
		.amdhsa_memory_ordered 1
		.amdhsa_forward_progress 0
		.amdhsa_round_robin_scheduling 0
		.amdhsa_exception_fp_ieee_invalid_op 0
		.amdhsa_exception_fp_denorm_src 0
		.amdhsa_exception_fp_ieee_div_zero 0
		.amdhsa_exception_fp_ieee_overflow 0
		.amdhsa_exception_fp_ieee_underflow 0
		.amdhsa_exception_fp_ieee_inexact 0
		.amdhsa_exception_int_div_zero 0
	.end_amdhsa_kernel
	.text
.Lfunc_end0:
	.size	fft_rtc_back_len2592_factors_6_6_6_6_2_wgs_216_tpt_216_halfLds_sp_ip_CI_sbrr_dirReg, .Lfunc_end0-fft_rtc_back_len2592_factors_6_6_6_6_2_wgs_216_tpt_216_halfLds_sp_ip_CI_sbrr_dirReg
                                        ; -- End function
	.section	.AMDGPU.csdata,"",@progbits
; Kernel info:
; codeLenInByte = 8516
; NumSgprs: 37
; NumVgprs: 87
; ScratchSize: 0
; MemoryBound: 0
; FloatMode: 240
; IeeeMode: 1
; LDSByteSize: 0 bytes/workgroup (compile time only)
; SGPRBlocks: 4
; VGPRBlocks: 10
; NumSGPRsForWavesPerEU: 37
; NumVGPRsForWavesPerEU: 87
; Occupancy: 16
; WaveLimiterHint : 1
; COMPUTE_PGM_RSRC2:SCRATCH_EN: 0
; COMPUTE_PGM_RSRC2:USER_SGPR: 2
; COMPUTE_PGM_RSRC2:TRAP_HANDLER: 0
; COMPUTE_PGM_RSRC2:TGID_X_EN: 1
; COMPUTE_PGM_RSRC2:TGID_Y_EN: 0
; COMPUTE_PGM_RSRC2:TGID_Z_EN: 0
; COMPUTE_PGM_RSRC2:TIDIG_COMP_CNT: 0
	.text
	.p2alignl 7, 3214868480
	.fill 96, 4, 3214868480
	.type	__hip_cuid_757dc70e617b42a9,@object ; @__hip_cuid_757dc70e617b42a9
	.section	.bss,"aw",@nobits
	.globl	__hip_cuid_757dc70e617b42a9
__hip_cuid_757dc70e617b42a9:
	.byte	0                               ; 0x0
	.size	__hip_cuid_757dc70e617b42a9, 1

	.ident	"AMD clang version 19.0.0git (https://github.com/RadeonOpenCompute/llvm-project roc-6.4.0 25133 c7fe45cf4b819c5991fe208aaa96edf142730f1d)"
	.section	".note.GNU-stack","",@progbits
	.addrsig
	.addrsig_sym __hip_cuid_757dc70e617b42a9
	.amdgpu_metadata
---
amdhsa.kernels:
  - .args:
      - .actual_access:  read_only
        .address_space:  global
        .offset:         0
        .size:           8
        .value_kind:     global_buffer
      - .offset:         8
        .size:           8
        .value_kind:     by_value
      - .actual_access:  read_only
        .address_space:  global
        .offset:         16
        .size:           8
        .value_kind:     global_buffer
      - .actual_access:  read_only
        .address_space:  global
        .offset:         24
        .size:           8
        .value_kind:     global_buffer
      - .offset:         32
        .size:           8
        .value_kind:     by_value
      - .actual_access:  read_only
        .address_space:  global
        .offset:         40
        .size:           8
        .value_kind:     global_buffer
      - .actual_access:  read_only
        .address_space:  global
        .offset:         48
        .size:           8
        .value_kind:     global_buffer
      - .offset:         56
        .size:           4
        .value_kind:     by_value
      - .actual_access:  read_only
        .address_space:  global
        .offset:         64
        .size:           8
        .value_kind:     global_buffer
      - .actual_access:  read_only
        .address_space:  global
        .offset:         72
        .size:           8
        .value_kind:     global_buffer
      - .address_space:  global
        .offset:         80
        .size:           8
        .value_kind:     global_buffer
    .group_segment_fixed_size: 0
    .kernarg_segment_align: 8
    .kernarg_segment_size: 88
    .language:       OpenCL C
    .language_version:
      - 2
      - 0
    .max_flat_workgroup_size: 216
    .name:           fft_rtc_back_len2592_factors_6_6_6_6_2_wgs_216_tpt_216_halfLds_sp_ip_CI_sbrr_dirReg
    .private_segment_fixed_size: 0
    .sgpr_count:     37
    .sgpr_spill_count: 0
    .symbol:         fft_rtc_back_len2592_factors_6_6_6_6_2_wgs_216_tpt_216_halfLds_sp_ip_CI_sbrr_dirReg.kd
    .uniform_work_group_size: 1
    .uses_dynamic_stack: false
    .vgpr_count:     87
    .vgpr_spill_count: 0
    .wavefront_size: 32
    .workgroup_processor_mode: 1
amdhsa.target:   amdgcn-amd-amdhsa--gfx1201
amdhsa.version:
  - 1
  - 2
...

	.end_amdgpu_metadata
